;; amdgpu-corpus repo=ROCm/rocFFT kind=compiled arch=gfx906 opt=O3
	.text
	.amdgcn_target "amdgcn-amd-amdhsa--gfx906"
	.amdhsa_code_object_version 6
	.protected	fft_rtc_back_len224_factors_7_2_2_2_2_2_wgs_64_tpt_16_halfLds_sp_ip_CI_sbrr_dirReg ; -- Begin function fft_rtc_back_len224_factors_7_2_2_2_2_2_wgs_64_tpt_16_halfLds_sp_ip_CI_sbrr_dirReg
	.globl	fft_rtc_back_len224_factors_7_2_2_2_2_2_wgs_64_tpt_16_halfLds_sp_ip_CI_sbrr_dirReg
	.p2align	8
	.type	fft_rtc_back_len224_factors_7_2_2_2_2_2_wgs_64_tpt_16_halfLds_sp_ip_CI_sbrr_dirReg,@function
fft_rtc_back_len224_factors_7_2_2_2_2_2_wgs_64_tpt_16_halfLds_sp_ip_CI_sbrr_dirReg: ; @fft_rtc_back_len224_factors_7_2_2_2_2_2_wgs_64_tpt_16_halfLds_sp_ip_CI_sbrr_dirReg
; %bb.0:
	s_load_dwordx2 s[14:15], s[4:5], 0x18
	s_load_dwordx4 s[8:11], s[4:5], 0x0
	s_load_dwordx2 s[12:13], s[4:5], 0x50
	v_lshrrev_b32_e32 v9, 4, v0
	v_mov_b32_e32 v3, 0
	s_waitcnt lgkmcnt(0)
	s_load_dwordx2 s[2:3], s[14:15], 0x0
	v_cmp_lt_u64_e64 s[0:1], s[10:11], 2
	v_mov_b32_e32 v1, 0
	v_lshl_or_b32 v5, s6, 2, v9
	v_mov_b32_e32 v6, v3
	s_and_b64 vcc, exec, s[0:1]
	v_mov_b32_e32 v2, 0
	s_cbranch_vccnz .LBB0_8
; %bb.1:
	s_load_dwordx2 s[0:1], s[4:5], 0x10
	s_add_u32 s6, s14, 8
	s_addc_u32 s7, s15, 0
	v_mov_b32_e32 v1, 0
	v_mov_b32_e32 v2, 0
	s_waitcnt lgkmcnt(0)
	s_add_u32 s16, s0, 8
	s_addc_u32 s17, s1, 0
	s_mov_b64 s[18:19], 1
.LBB0_2:                                ; =>This Inner Loop Header: Depth=1
	s_load_dwordx2 s[20:21], s[16:17], 0x0
                                        ; implicit-def: $vgpr7_vgpr8
	s_waitcnt lgkmcnt(0)
	v_or_b32_e32 v4, s21, v6
	v_cmp_ne_u64_e32 vcc, 0, v[3:4]
	s_and_saveexec_b64 s[0:1], vcc
	s_xor_b64 s[22:23], exec, s[0:1]
	s_cbranch_execz .LBB0_4
; %bb.3:                                ;   in Loop: Header=BB0_2 Depth=1
	v_cvt_f32_u32_e32 v4, s20
	v_cvt_f32_u32_e32 v7, s21
	s_sub_u32 s0, 0, s20
	s_subb_u32 s1, 0, s21
	v_mac_f32_e32 v4, 0x4f800000, v7
	v_rcp_f32_e32 v4, v4
	v_mul_f32_e32 v4, 0x5f7ffffc, v4
	v_mul_f32_e32 v7, 0x2f800000, v4
	v_trunc_f32_e32 v7, v7
	v_mac_f32_e32 v4, 0xcf800000, v7
	v_cvt_u32_f32_e32 v7, v7
	v_cvt_u32_f32_e32 v4, v4
	v_mul_lo_u32 v8, s0, v7
	v_mul_hi_u32 v10, s0, v4
	v_mul_lo_u32 v12, s1, v4
	v_mul_lo_u32 v11, s0, v4
	v_add_u32_e32 v8, v10, v8
	v_add_u32_e32 v8, v8, v12
	v_mul_hi_u32 v10, v4, v11
	v_mul_lo_u32 v12, v4, v8
	v_mul_hi_u32 v14, v4, v8
	v_mul_hi_u32 v13, v7, v11
	v_mul_lo_u32 v11, v7, v11
	v_mul_hi_u32 v15, v7, v8
	v_add_co_u32_e32 v10, vcc, v10, v12
	v_addc_co_u32_e32 v12, vcc, 0, v14, vcc
	v_mul_lo_u32 v8, v7, v8
	v_add_co_u32_e32 v10, vcc, v10, v11
	v_addc_co_u32_e32 v10, vcc, v12, v13, vcc
	v_addc_co_u32_e32 v11, vcc, 0, v15, vcc
	v_add_co_u32_e32 v8, vcc, v10, v8
	v_addc_co_u32_e32 v10, vcc, 0, v11, vcc
	v_add_co_u32_e32 v4, vcc, v4, v8
	v_addc_co_u32_e32 v7, vcc, v7, v10, vcc
	v_mul_lo_u32 v8, s0, v7
	v_mul_hi_u32 v10, s0, v4
	v_mul_lo_u32 v11, s1, v4
	v_mul_lo_u32 v12, s0, v4
	v_add_u32_e32 v8, v10, v8
	v_add_u32_e32 v8, v8, v11
	v_mul_lo_u32 v13, v4, v8
	v_mul_hi_u32 v14, v4, v12
	v_mul_hi_u32 v15, v4, v8
	;; [unrolled: 1-line block ×3, first 2 shown]
	v_mul_lo_u32 v12, v7, v12
	v_mul_hi_u32 v10, v7, v8
	v_add_co_u32_e32 v13, vcc, v14, v13
	v_addc_co_u32_e32 v14, vcc, 0, v15, vcc
	v_mul_lo_u32 v8, v7, v8
	v_add_co_u32_e32 v12, vcc, v13, v12
	v_addc_co_u32_e32 v11, vcc, v14, v11, vcc
	v_addc_co_u32_e32 v10, vcc, 0, v10, vcc
	v_add_co_u32_e32 v8, vcc, v11, v8
	v_addc_co_u32_e32 v10, vcc, 0, v10, vcc
	v_add_co_u32_e32 v4, vcc, v4, v8
	v_addc_co_u32_e32 v10, vcc, v7, v10, vcc
	v_mad_u64_u32 v[7:8], s[0:1], v5, v10, 0
	v_mul_hi_u32 v11, v5, v4
	v_add_co_u32_e32 v12, vcc, v11, v7
	v_addc_co_u32_e32 v13, vcc, 0, v8, vcc
	v_mad_u64_u32 v[7:8], s[0:1], v6, v4, 0
	v_mad_u64_u32 v[10:11], s[0:1], v6, v10, 0
	v_add_co_u32_e32 v4, vcc, v12, v7
	v_addc_co_u32_e32 v4, vcc, v13, v8, vcc
	v_addc_co_u32_e32 v7, vcc, 0, v11, vcc
	v_add_co_u32_e32 v4, vcc, v4, v10
	v_addc_co_u32_e32 v10, vcc, 0, v7, vcc
	v_mul_lo_u32 v11, s21, v4
	v_mul_lo_u32 v12, s20, v10
	v_mad_u64_u32 v[7:8], s[0:1], s20, v4, 0
	v_add3_u32 v8, v8, v12, v11
	v_sub_u32_e32 v11, v6, v8
	v_mov_b32_e32 v12, s21
	v_sub_co_u32_e32 v7, vcc, v5, v7
	v_subb_co_u32_e64 v11, s[0:1], v11, v12, vcc
	v_subrev_co_u32_e64 v12, s[0:1], s20, v7
	v_subbrev_co_u32_e64 v11, s[0:1], 0, v11, s[0:1]
	v_cmp_le_u32_e64 s[0:1], s21, v11
	v_cndmask_b32_e64 v13, 0, -1, s[0:1]
	v_cmp_le_u32_e64 s[0:1], s20, v12
	v_cndmask_b32_e64 v12, 0, -1, s[0:1]
	v_cmp_eq_u32_e64 s[0:1], s21, v11
	v_cndmask_b32_e64 v11, v13, v12, s[0:1]
	v_add_co_u32_e64 v12, s[0:1], 2, v4
	v_addc_co_u32_e64 v13, s[0:1], 0, v10, s[0:1]
	v_add_co_u32_e64 v14, s[0:1], 1, v4
	v_addc_co_u32_e64 v15, s[0:1], 0, v10, s[0:1]
	v_subb_co_u32_e32 v8, vcc, v6, v8, vcc
	v_cmp_ne_u32_e64 s[0:1], 0, v11
	v_cmp_le_u32_e32 vcc, s21, v8
	v_cndmask_b32_e64 v11, v15, v13, s[0:1]
	v_cndmask_b32_e64 v13, 0, -1, vcc
	v_cmp_le_u32_e32 vcc, s20, v7
	v_cndmask_b32_e64 v7, 0, -1, vcc
	v_cmp_eq_u32_e32 vcc, s21, v8
	v_cndmask_b32_e32 v7, v13, v7, vcc
	v_cmp_ne_u32_e32 vcc, 0, v7
	v_cndmask_b32_e64 v7, v14, v12, s[0:1]
	v_cndmask_b32_e32 v8, v10, v11, vcc
	v_cndmask_b32_e32 v7, v4, v7, vcc
.LBB0_4:                                ;   in Loop: Header=BB0_2 Depth=1
	s_andn2_saveexec_b64 s[0:1], s[22:23]
	s_cbranch_execz .LBB0_6
; %bb.5:                                ;   in Loop: Header=BB0_2 Depth=1
	v_cvt_f32_u32_e32 v4, s20
	s_sub_i32 s22, 0, s20
	v_rcp_iflag_f32_e32 v4, v4
	v_mul_f32_e32 v4, 0x4f7ffffe, v4
	v_cvt_u32_f32_e32 v4, v4
	v_mul_lo_u32 v7, s22, v4
	v_mul_hi_u32 v7, v4, v7
	v_add_u32_e32 v4, v4, v7
	v_mul_hi_u32 v4, v5, v4
	v_mul_lo_u32 v7, v4, s20
	v_add_u32_e32 v8, 1, v4
	v_sub_u32_e32 v7, v5, v7
	v_subrev_u32_e32 v10, s20, v7
	v_cmp_le_u32_e32 vcc, s20, v7
	v_cndmask_b32_e32 v7, v7, v10, vcc
	v_cndmask_b32_e32 v4, v4, v8, vcc
	v_add_u32_e32 v8, 1, v4
	v_cmp_le_u32_e32 vcc, s20, v7
	v_cndmask_b32_e32 v7, v4, v8, vcc
	v_mov_b32_e32 v8, v3
.LBB0_6:                                ;   in Loop: Header=BB0_2 Depth=1
	s_or_b64 exec, exec, s[0:1]
	v_mul_lo_u32 v4, v8, s20
	v_mul_lo_u32 v12, v7, s21
	v_mad_u64_u32 v[10:11], s[0:1], v7, s20, 0
	s_load_dwordx2 s[0:1], s[6:7], 0x0
	s_add_u32 s18, s18, 1
	v_add3_u32 v4, v11, v12, v4
	v_sub_co_u32_e32 v5, vcc, v5, v10
	v_subb_co_u32_e32 v4, vcc, v6, v4, vcc
	s_waitcnt lgkmcnt(0)
	v_mul_lo_u32 v4, s0, v4
	v_mul_lo_u32 v6, s1, v5
	v_mad_u64_u32 v[1:2], s[0:1], s0, v5, v[1:2]
	s_addc_u32 s19, s19, 0
	s_add_u32 s6, s6, 8
	v_add3_u32 v2, v6, v2, v4
	v_mov_b32_e32 v4, s10
	v_mov_b32_e32 v5, s11
	s_addc_u32 s7, s7, 0
	v_cmp_ge_u64_e32 vcc, s[18:19], v[4:5]
	s_add_u32 s16, s16, 8
	s_addc_u32 s17, s17, 0
	s_cbranch_vccnz .LBB0_9
; %bb.7:                                ;   in Loop: Header=BB0_2 Depth=1
	v_mov_b32_e32 v5, v7
	v_mov_b32_e32 v6, v8
	s_branch .LBB0_2
.LBB0_8:
	v_mov_b32_e32 v8, v6
	v_mov_b32_e32 v7, v5
.LBB0_9:
	s_lshl_b64 s[0:1], s[10:11], 3
	s_add_u32 s0, s14, s0
	s_addc_u32 s1, s15, s1
	s_load_dwordx2 s[6:7], s[0:1], 0x0
	s_load_dwordx2 s[10:11], s[4:5], 0x20
	v_and_b32_e32 v0, 15, v0
	v_or_b32_e32 v48, 48, v0
	v_or_b32_e32 v47, 64, v0
	s_waitcnt lgkmcnt(0)
	v_mul_lo_u32 v3, s6, v8
	v_mul_lo_u32 v4, s7, v7
	v_mad_u64_u32 v[18:19], s[0:1], s6, v7, v[1:2]
	v_cmp_gt_u64_e32 vcc, s[10:11], v[7:8]
	v_cmp_le_u64_e64 s[0:1], s[10:11], v[7:8]
	v_add3_u32 v19, v4, v19, v3
	v_or_b32_e32 v4, 16, v0
	v_or_b32_e32 v2, 32, v0
                                        ; implicit-def: $sgpr6_sgpr7
                                        ; implicit-def: $vgpr5
                                        ; implicit-def: $vgpr20
                                        ; implicit-def: $vgpr12
                                        ; implicit-def: $vgpr13
                                        ; implicit-def: $vgpr10
                                        ; implicit-def: $vgpr8
                                        ; implicit-def: $vgpr16_vgpr17
                                        ; implicit-def: $vgpr14_vgpr15
	s_and_saveexec_b64 s[4:5], s[0:1]
	s_xor_b64 s[0:1], exec, s[4:5]
	s_cbranch_execz .LBB0_11
; %bb.10:
	v_mov_b32_e32 v1, 0
	v_or_b32_e32 v20, 32, v0
	v_mov_b32_e32 v6, v1
	v_or_b32_e32 v5, 16, v0
	v_mov_b32_e32 v21, v1
	v_mov_b32_e32 v17, v6
	;; [unrolled: 1-line block ×3, first 2 shown]
	v_or_b32_e32 v12, 48, v0
	v_or_b32_e32 v13, 64, v0
	;; [unrolled: 1-line block ×4, first 2 shown]
	s_mov_b64 s[6:7], 0
	v_mov_b32_e32 v16, v5
	v_mov_b32_e32 v15, v21
.LBB0_11:
	s_or_saveexec_b64 s[4:5], s[0:1]
	v_mov_b32_e32 v36, s7
	v_lshlrev_b64 v[6:7], 3, v[18:19]
	v_mov_b32_e32 v46, s7
	v_mov_b32_e32 v44, s7
	;; [unrolled: 1-line block ×15, first 2 shown]
                                        ; implicit-def: $vgpr40
                                        ; implicit-def: $vgpr24
                                        ; implicit-def: $vgpr26
                                        ; implicit-def: $vgpr28
                                        ; implicit-def: $vgpr42
                                        ; implicit-def: $vgpr38
	s_xor_b64 exec, exec, s[4:5]
	s_cbranch_execz .LBB0_13
; %bb.12:
	v_mad_u64_u32 v[10:11], s[0:1], s2, v0, 0
	v_or_b32_e32 v8, 0x60, v0
	v_mov_b32_e32 v1, v11
	v_mad_u64_u32 v[11:12], s[0:1], s3, v0, v[1:2]
	v_mad_u64_u32 v[12:13], s[0:1], s2, v2, 0
	v_mov_b32_e32 v1, s13
	v_add_co_u32_e64 v3, s[0:1], s12, v6
	v_addc_co_u32_e64 v5, s[0:1], v1, v7, s[0:1]
	v_mov_b32_e32 v1, v13
	v_mad_u64_u32 v[13:14], s[0:1], s3, v2, v[1:2]
	v_mad_u64_u32 v[14:15], s[0:1], s2, v47, 0
	v_lshlrev_b64 v[10:11], 3, v[10:11]
	v_add_co_u32_e64 v16, s[0:1], v3, v10
	v_mov_b32_e32 v1, v15
	v_addc_co_u32_e64 v17, s[0:1], v5, v11, s[0:1]
	v_lshlrev_b64 v[10:11], 3, v[12:13]
	v_mad_u64_u32 v[12:13], s[0:1], s3, v47, v[1:2]
	v_mad_u64_u32 v[18:19], s[0:1], s2, v8, 0
	v_add_co_u32_e64 v49, s[0:1], v3, v10
	v_mov_b32_e32 v15, v12
	v_mov_b32_e32 v1, v19
	v_addc_co_u32_e64 v50, s[0:1], v5, v11, s[0:1]
	v_lshlrev_b64 v[10:11], 3, v[14:15]
	v_mad_u64_u32 v[12:13], s[0:1], s3, v8, v[1:2]
	v_or_b32_e32 v15, 0x80, v0
	v_mad_u64_u32 v[13:14], s[0:1], s2, v15, 0
	v_add_co_u32_e64 v51, s[0:1], v3, v10
	v_mov_b32_e32 v19, v12
	v_or_b32_e32 v12, 0xa0, v0
	v_addc_co_u32_e64 v52, s[0:1], v5, v11, s[0:1]
	v_lshlrev_b64 v[10:11], 3, v[18:19]
	v_mov_b32_e32 v1, v14
	v_mad_u64_u32 v[18:19], s[0:1], s2, v12, 0
	v_mad_u64_u32 v[14:15], s[0:1], s3, v15, v[1:2]
	v_add_co_u32_e64 v53, s[0:1], v3, v10
	v_mov_b32_e32 v1, v19
	v_addc_co_u32_e64 v54, s[0:1], v5, v11, s[0:1]
	v_lshlrev_b64 v[10:11], 3, v[13:14]
	v_mad_u64_u32 v[12:13], s[0:1], s3, v12, v[1:2]
	v_or_b32_e32 v15, 0xc0, v0
	v_mad_u64_u32 v[13:14], s[0:1], s2, v15, 0
	v_add_co_u32_e64 v55, s[0:1], v3, v10
	v_mov_b32_e32 v19, v12
	v_addc_co_u32_e64 v56, s[0:1], v5, v11, s[0:1]
	v_lshlrev_b64 v[10:11], 3, v[18:19]
	v_mov_b32_e32 v1, v14
	v_mad_u64_u32 v[18:19], s[0:1], s2, v4, 0
	v_mad_u64_u32 v[14:15], s[0:1], s3, v15, v[1:2]
	v_add_co_u32_e64 v57, s[0:1], v3, v10
	v_mov_b32_e32 v1, v19
	v_addc_co_u32_e64 v58, s[0:1], v5, v11, s[0:1]
	v_lshlrev_b64 v[10:11], 3, v[13:14]
	v_mad_u64_u32 v[12:13], s[0:1], s3, v4, v[1:2]
	v_mad_u64_u32 v[13:14], s[0:1], s2, v48, 0
	v_add_co_u32_e64 v59, s[0:1], v3, v10
	v_mov_b32_e32 v19, v12
	v_or_b32_e32 v10, 0x50, v0
	v_addc_co_u32_e64 v60, s[0:1], v5, v11, s[0:1]
	v_lshlrev_b64 v[11:12], 3, v[18:19]
	v_mad_u64_u32 v[18:19], s[0:1], s2, v10, 0
	v_mov_b32_e32 v1, v14
	v_mad_u64_u32 v[14:15], s[0:1], s3, v48, v[1:2]
	v_add_co_u32_e64 v11, s[0:1], v3, v11
	v_mov_b32_e32 v1, v19
	v_addc_co_u32_e64 v12, s[0:1], v5, v12, s[0:1]
	v_mad_u64_u32 v[19:20], s[0:1], s3, v10, v[1:2]
	v_or_b32_e32 v15, 0x70, v0
	v_mad_u64_u32 v[20:21], s[0:1], s2, v15, 0
	v_lshlrev_b64 v[13:14], 3, v[13:14]
	v_lshlrev_b64 v[18:19], 3, v[18:19]
	v_add_co_u32_e64 v13, s[0:1], v3, v13
	v_mov_b32_e32 v1, v21
	v_addc_co_u32_e64 v14, s[0:1], v5, v14, s[0:1]
	v_mad_u64_u32 v[21:22], s[0:1], s3, v15, v[1:2]
	v_or_b32_e32 v15, 0x90, v0
	v_mad_u64_u32 v[22:23], s[0:1], s2, v15, 0
	v_add_co_u32_e64 v61, s[0:1], v3, v18
	v_mov_b32_e32 v1, v23
	v_addc_co_u32_e64 v62, s[0:1], v5, v19, s[0:1]
	v_lshlrev_b64 v[18:19], 3, v[20:21]
	v_mad_u64_u32 v[20:21], s[0:1], s3, v15, v[1:2]
	v_or_b32_e32 v15, 0xb0, v0
	v_mad_u64_u32 v[24:25], s[0:1], s2, v15, 0
	v_add_co_u32_e64 v63, s[0:1], v3, v18
	v_mov_b32_e32 v1, v25
	v_addc_co_u32_e64 v64, s[0:1], v5, v19, s[0:1]
	v_mov_b32_e32 v23, v20
	v_mad_u64_u32 v[20:21], s[0:1], s3, v15, v[1:2]
	v_or_b32_e32 v15, 0xd0, v0
	v_lshlrev_b64 v[18:19], 3, v[22:23]
	v_mad_u64_u32 v[21:22], s[0:1], s2, v15, 0
	v_add_co_u32_e64 v65, s[0:1], v3, v18
	v_mov_b32_e32 v1, v22
	v_addc_co_u32_e64 v66, s[0:1], v5, v19, s[0:1]
	v_mov_b32_e32 v25, v20
	v_mad_u64_u32 v[22:23], s[0:1], s3, v15, v[1:2]
	v_lshlrev_b64 v[18:19], 3, v[24:25]
	v_mov_b32_e32 v1, 0
	v_add_co_u32_e64 v67, s[0:1], v3, v18
	v_addc_co_u32_e64 v68, s[0:1], v5, v19, s[0:1]
	v_lshlrev_b64 v[18:19], 3, v[21:22]
	v_mov_b32_e32 v20, v2
	v_add_co_u32_e64 v69, s[0:1], v3, v18
	v_addc_co_u32_e64 v70, s[0:1], v5, v19, s[0:1]
	global_load_dwordx2 v[21:22], v[16:17], off
	global_load_dwordx2 v[35:36], v[49:50], off
	;; [unrolled: 1-line block ×14, first 2 shown]
	v_mov_b32_e32 v3, v1
	v_mov_b32_e32 v5, v1
	;; [unrolled: 1-line block ×9, first 2 shown]
.LBB0_13:
	s_or_b64 exec, exec, s[4:5]
	s_waitcnt vmcnt(7)
	v_add_f32_e32 v3, v39, v35
	v_add_f32_e32 v49, v40, v36
	v_sub_f32_e32 v11, v36, v40
	v_add_f32_e32 v36, v41, v45
	v_sub_f32_e32 v35, v35, v39
	;; [unrolled: 2-line block ×3, first 2 shown]
	v_sub_f32_e32 v41, v46, v42
	v_add_f32_e32 v42, v37, v43
	v_add_f32_e32 v45, v38, v44
	v_sub_f32_e32 v37, v43, v37
	v_sub_f32_e32 v38, v44, v38
	s_waitcnt vmcnt(0)
	v_add_f32_e32 v43, v27, v33
	v_add_f32_e32 v44, v28, v34
	v_sub_f32_e32 v46, v33, v27
	v_sub_f32_e32 v27, v34, v28
	v_add_f32_e32 v28, v25, v31
	v_add_f32_e32 v50, v26, v32
	v_sub_f32_e32 v51, v31, v25
	v_sub_f32_e32 v25, v32, v26
	v_add_f32_e32 v26, v23, v29
	v_sub_f32_e32 v23, v29, v23
	v_add_f32_e32 v29, v3, v36
	v_add_f32_e32 v29, v29, v42
	;; [unrolled: 1-line block ×3, first 2 shown]
	v_sub_f32_e32 v31, v42, v36
	v_add_f32_e32 v32, v41, v38
	v_sub_f32_e32 v33, v38, v41
	v_sub_f32_e32 v34, v11, v38
	v_mov_b32_e32 v38, v21
	v_add_f32_e32 v52, v24, v30
	v_sub_f32_e32 v24, v30, v24
	v_sub_f32_e32 v30, v36, v3
	;; [unrolled: 1-line block ×4, first 2 shown]
	v_add_f32_e32 v32, v11, v32
	v_fmac_f32_e32 v38, 0xbf955555, v29
	v_mul_u32_u24_e32 v9, 0xe0, v9
	v_mul_f32_e32 v11, 0x3d64c772, v31
	v_mul_f32_e32 v29, 0x3f08b237, v33
	s_mov_b32 s0, 0xbf5ff5aa
	s_mov_b32 s1, 0x3f3bfb3b
	v_fma_f32 v31, v30, s1, -v11
	v_fmac_f32_e32 v11, 0x3f4a47b2, v3
	v_fma_f32 v33, v36, s0, -v29
	v_fmac_f32_e32 v29, 0xbeae86e6, v34
	v_lshlrev_b32_e32 v9, 2, v9
	v_add_f32_e32 v41, v11, v38
	v_fmac_f32_e32 v29, 0xbee1c552, v32
	v_add_u32_e32 v11, 0, v9
	v_add_f32_e32 v42, v41, v29
	v_mad_u32_u24 v53, v0, 28, v11
	ds_write2_b32 v53, v21, v42 offset1:1
	v_mul_f32_e32 v3, 0x3f4a47b2, v3
	s_mov_b32 s4, 0xbf3bfb3b
	v_mul_f32_e32 v21, 0xbf5ff5aa, v36
	s_mov_b32 s5, 0x3eae86e6
	v_fma_f32 v3, v30, s4, -v3
	v_fma_f32 v21, v34, s5, -v21
	v_add_f32_e32 v3, v3, v38
	v_fmac_f32_e32 v21, 0xbee1c552, v32
	v_add_f32_e32 v30, v31, v38
	v_fmac_f32_e32 v33, 0xbee1c552, v32
	v_add_f32_e32 v31, v3, v21
	v_sub_f32_e32 v3, v3, v21
	v_add_f32_e32 v21, v43, v28
	v_sub_f32_e32 v32, v30, v33
	v_add_f32_e32 v30, v30, v33
	v_add_f32_e32 v21, v21, v26
	ds_write2_b32 v53, v30, v3 offset0:4 offset1:5
	v_sub_f32_e32 v3, v41, v29
	v_sub_f32_e32 v29, v28, v43
	v_sub_f32_e32 v30, v43, v26
	v_sub_f32_e32 v28, v26, v28
	v_add_f32_e32 v26, v25, v24
	v_add_f32_e32 v18, v21, v18
	ds_write2_b32 v53, v31, v32 offset0:2 offset1:3
	v_sub_f32_e32 v31, v24, v25
	v_sub_f32_e32 v24, v27, v24
	;; [unrolled: 1-line block ×3, first 2 shown]
	v_add_f32_e32 v26, v27, v26
	v_mov_b32_e32 v27, v18
	v_fmac_f32_e32 v27, 0xbf955555, v21
	ds_write_b32 v53, v3 offset:24
	v_mul_f32_e32 v3, 0x3d64c772, v28
	v_mul_f32_e32 v21, 0x3f08b237, v31
	v_fma_f32 v28, v29, s1, -v3
	v_fmac_f32_e32 v3, 0x3f4a47b2, v30
	v_fma_f32 v31, v25, s0, -v21
	v_fmac_f32_e32 v21, 0xbeae86e6, v24
	v_add_f32_e32 v3, v3, v27
	v_fmac_f32_e32 v21, 0xbee1c552, v26
	v_add_f32_e32 v32, v3, v21
	v_mad_i32_i24 v38, v5, 28, v11
	ds_write2_b32 v38, v18, v32 offset1:1
	v_mul_f32_e32 v18, 0x3f4a47b2, v30
	v_mul_f32_e32 v25, 0xbf5ff5aa, v25
	v_fma_f32 v18, v29, s4, -v18
	v_fma_f32 v24, v24, s5, -v25
	v_add_f32_e32 v25, v28, v27
	v_add_f32_e32 v18, v18, v27
	v_fmac_f32_e32 v31, 0xbee1c552, v26
	v_fmac_f32_e32 v24, 0xbee1c552, v26
	v_add_f32_e32 v26, v18, v24
	v_sub_f32_e32 v27, v25, v31
	ds_write2_b32 v38, v26, v27 offset0:2 offset1:3
	v_add_f32_e32 v26, v49, v39
	v_add_f32_e32 v26, v26, v45
	v_sub_f32_e32 v27, v45, v39
	v_sub_f32_e32 v29, v37, v40
	v_add_f32_e32 v43, v26, v22
	v_sub_f32_e32 v41, v39, v49
	v_sub_f32_e32 v42, v49, v45
	;; [unrolled: 3-line block ×3, first 2 shown]
	v_mov_b32_e32 v45, v43
	v_add_f32_e32 v22, v25, v31
	v_mul_f32_e32 v25, 0x3d64c772, v27
	v_mul_f32_e32 v49, 0x3f08b237, v29
	v_add_f32_e32 v40, v35, v28
	v_fmac_f32_e32 v45, 0xbf955555, v26
	v_sub_f32_e32 v18, v18, v24
	v_fma_f32 v54, v41, s1, -v25
	v_fmac_f32_e32 v25, 0x3f4a47b2, v42
	v_sub_f32_e32 v3, v3, v21
	v_fma_f32 v21, v39, s0, -v49
	v_fmac_f32_e32 v49, 0xbeae86e6, v37
	v_add_f32_e32 v55, v25, v45
	v_fmac_f32_e32 v49, 0xbee1c552, v40
	ds_write2_b32 v38, v22, v18 offset0:4 offset1:5
	ds_write_b32 v38, v3 offset:24
	v_lshlrev_b32_e32 v22, 2, v0
	v_add_u32_e32 v3, v11, v22
	s_movk_i32 s6, 0xffe8
	v_lshl_add_u32 v33, v12, 2, v11
	v_sub_f32_e32 v18, v55, v49
	s_waitcnt lgkmcnt(0)
	; wave barrier
	s_waitcnt lgkmcnt(0)
	ds_read_b32 v56, v3
	v_mad_i32_i24 v30, v0, s6, v53
	v_mad_i32_i24 v31, v5, s6, v38
	v_lshl_add_u32 v32, v20, 2, v11
	v_lshl_add_u32 v34, v13, 2, v11
	v_lshl_add_u32 v35, v10, 2, v11
	v_lshl_add_u32 v36, v8, 2, v11
	ds_read_b32 v57, v33
	ds_read_b32 v58, v34
	;; [unrolled: 1-line block ×6, first 2 shown]
	ds_read_b32 v63, v30 offset:832
	ds_read2_b32 v[24:25], v30 offset0:112 offset1:128
	ds_read2_b32 v[26:27], v30 offset0:144 offset1:160
	;; [unrolled: 1-line block ×3, first 2 shown]
	s_waitcnt lgkmcnt(0)
	; wave barrier
	s_waitcnt lgkmcnt(0)
	ds_write2_b32 v53, v43, v18 offset1:1
	v_mul_f32_e32 v18, 0x3f4a47b2, v42
	v_mul_f32_e32 v39, 0xbf5ff5aa, v39
	v_fma_f32 v18, v41, s4, -v18
	v_fma_f32 v37, v37, s5, -v39
	v_add_f32_e32 v39, v54, v45
	v_add_f32_e32 v18, v18, v45
	v_fmac_f32_e32 v21, 0xbee1c552, v40
	v_fmac_f32_e32 v37, 0xbee1c552, v40
	v_sub_f32_e32 v40, v18, v37
	v_add_f32_e32 v41, v21, v39
	v_sub_f32_e32 v21, v39, v21
	v_add_f32_e32 v18, v37, v18
	ds_write2_b32 v53, v21, v18 offset0:4 offset1:5
	v_add_f32_e32 v18, v49, v55
	ds_write_b32 v53, v18 offset:24
	v_add_f32_e32 v18, v44, v50
	v_add_f32_e32 v18, v18, v52
	;; [unrolled: 1-line block ×3, first 2 shown]
	ds_write2_b32 v53, v40, v41 offset0:2 offset1:3
	v_sub_f32_e32 v39, v52, v50
	v_sub_f32_e32 v41, v23, v51
	v_mov_b32_e32 v43, v19
	v_sub_f32_e32 v21, v50, v44
	v_sub_f32_e32 v37, v44, v52
	v_add_f32_e32 v40, v51, v23
	v_sub_f32_e32 v23, v46, v23
	v_sub_f32_e32 v42, v51, v46
	v_fmac_f32_e32 v43, 0xbf955555, v18
	v_mul_f32_e32 v18, 0x3d64c772, v39
	v_mul_f32_e32 v39, 0x3f08b237, v41
	v_add_f32_e32 v40, v46, v40
	v_fma_f32 v41, v21, s1, -v18
	v_fmac_f32_e32 v18, 0x3f4a47b2, v37
	v_fma_f32 v44, v42, s0, -v39
	v_fmac_f32_e32 v39, 0xbeae86e6, v23
	v_add_f32_e32 v18, v18, v43
	v_fmac_f32_e32 v39, 0xbee1c552, v40
	v_sub_f32_e32 v45, v18, v39
	ds_write2_b32 v38, v19, v45 offset1:1
	v_mul_f32_e32 v19, 0x3f4a47b2, v37
	v_fma_f32 v19, v21, s4, -v19
	v_mul_f32_e32 v21, 0xbf5ff5aa, v42
	v_fma_f32 v21, v23, s5, -v21
	v_add_f32_e32 v19, v19, v43
	v_fmac_f32_e32 v21, 0xbee1c552, v40
	v_add_f32_e32 v23, v41, v43
	v_fmac_f32_e32 v44, 0xbee1c552, v40
	v_sub_f32_e32 v37, v19, v21
	v_add_f32_e32 v19, v21, v19
	v_add_f32_e32 v18, v39, v18
	v_mov_b32_e32 v21, 37
	v_add_f32_e32 v40, v44, v23
	v_sub_f32_e32 v23, v23, v44
	ds_write_b32 v38, v18 offset:24
	v_mul_lo_u16_sdwa v18, v5, v21 dst_sel:DWORD dst_unused:UNUSED_PAD src0_sel:BYTE_0 src1_sel:DWORD
	ds_write2_b32 v38, v23, v19 offset0:4 offset1:5
	v_sub_u16_sdwa v19, v5, v18 dst_sel:DWORD dst_unused:UNUSED_PAD src0_sel:DWORD src1_sel:BYTE_1
	v_lshrrev_b16_e32 v19, 1, v19
	v_and_b32_e32 v19, 0x7f, v19
	v_add_u16_sdwa v18, v19, v18 dst_sel:DWORD dst_unused:UNUSED_PAD src0_sel:DWORD src1_sel:BYTE_1
	v_mul_lo_u16_sdwa v19, v20, v21 dst_sel:DWORD dst_unused:UNUSED_PAD src0_sel:BYTE_0 src1_sel:DWORD
	v_sub_u16_sdwa v23, v20, v19 dst_sel:DWORD dst_unused:UNUSED_PAD src0_sel:DWORD src1_sel:BYTE_1
	v_lshrrev_b16_e32 v23, 1, v23
	v_and_b32_e32 v23, 0x7f, v23
	v_add_u16_sdwa v19, v23, v19 dst_sel:DWORD dst_unused:UNUSED_PAD src0_sel:DWORD src1_sel:BYTE_1
	v_mul_lo_u16_sdwa v23, v12, v21 dst_sel:DWORD dst_unused:UNUSED_PAD src0_sel:BYTE_0 src1_sel:DWORD
	ds_write2_b32 v38, v37, v40 offset0:2 offset1:3
	v_sub_u16_sdwa v37, v12, v23 dst_sel:DWORD dst_unused:UNUSED_PAD src0_sel:DWORD src1_sel:BYTE_1
	v_lshrrev_b16_e32 v37, 1, v37
	v_and_b32_e32 v37, 0x7f, v37
	v_add_u16_sdwa v23, v37, v23 dst_sel:DWORD dst_unused:UNUSED_PAD src0_sel:DWORD src1_sel:BYTE_1
	v_mul_lo_u16_e32 v37, 37, v0
	v_lshrrev_b16_e32 v55, 2, v18
	v_lshrrev_b16_e32 v53, 8, v37
	v_mul_lo_u16_e32 v18, 7, v55
	v_lshrrev_b16_e32 v65, 2, v19
	v_mul_lo_u16_e32 v37, 7, v53
	v_sub_u16_e32 v64, v5, v18
	v_mul_lo_u16_e32 v18, 7, v65
	v_lshrrev_b16_e32 v67, 2, v23
	v_sub_u16_e32 v54, v0, v37
	v_sub_u16_e32 v66, v20, v18
	v_mul_lo_u16_e32 v18, 7, v67
	v_mov_b32_e32 v23, 3
	v_sub_u16_e32 v68, v12, v18
	v_lshlrev_b32_sdwa v43, v23, v54 dst_sel:DWORD dst_unused:UNUSED_PAD src0_sel:DWORD src1_sel:BYTE_0
	s_waitcnt lgkmcnt(0)
	; wave barrier
	s_waitcnt lgkmcnt(0)
	v_lshlrev_b32_sdwa v44, v23, v64 dst_sel:DWORD dst_unused:UNUSED_PAD src0_sel:DWORD src1_sel:BYTE_0
	v_lshlrev_b32_sdwa v45, v23, v66 dst_sel:DWORD dst_unused:UNUSED_PAD src0_sel:DWORD src1_sel:BYTE_0
	v_lshlrev_b32_sdwa v46, v23, v68 dst_sel:DWORD dst_unused:UNUSED_PAD src0_sel:DWORD src1_sel:BYTE_0
	global_load_dwordx2 v[18:19], v43, s[8:9]
	global_load_dwordx2 v[37:38], v44, s[8:9]
	;; [unrolled: 1-line block ×4, first 2 shown]
	v_mul_lo_u16_sdwa v43, v13, v21 dst_sel:DWORD dst_unused:UNUSED_PAD src0_sel:BYTE_0 src1_sel:DWORD
	v_sub_u16_sdwa v44, v13, v43 dst_sel:DWORD dst_unused:UNUSED_PAD src0_sel:DWORD src1_sel:BYTE_1
	v_lshrrev_b16_e32 v44, 1, v44
	v_and_b32_e32 v44, 0x7f, v44
	v_add_u16_sdwa v43, v44, v43 dst_sel:DWORD dst_unused:UNUSED_PAD src0_sel:DWORD src1_sel:BYTE_1
	v_mul_lo_u16_sdwa v44, v10, v21 dst_sel:DWORD dst_unused:UNUSED_PAD src0_sel:BYTE_0 src1_sel:DWORD
	v_sub_u16_sdwa v45, v10, v44 dst_sel:DWORD dst_unused:UNUSED_PAD src0_sel:DWORD src1_sel:BYTE_1
	v_lshrrev_b16_e32 v45, 1, v45
	v_mul_lo_u16_sdwa v21, v8, v21 dst_sel:DWORD dst_unused:UNUSED_PAD src0_sel:BYTE_0 src1_sel:DWORD
	v_and_b32_e32 v45, 0x7f, v45
	v_lshrrev_b16_e32 v69, 2, v43
	v_sub_u16_sdwa v49, v8, v21 dst_sel:DWORD dst_unused:UNUSED_PAD src0_sel:DWORD src1_sel:BYTE_1
	v_add_u16_sdwa v44, v45, v44 dst_sel:DWORD dst_unused:UNUSED_PAD src0_sel:DWORD src1_sel:BYTE_1
	v_mul_lo_u16_e32 v43, 7, v69
	v_lshrrev_b16_e32 v49, 1, v49
	v_sub_u16_e32 v70, v13, v43
	v_lshrrev_b16_e32 v71, 2, v44
	v_and_b32_e32 v49, 0x7f, v49
	v_lshlrev_b32_sdwa v43, v23, v70 dst_sel:DWORD dst_unused:UNUSED_PAD src0_sel:DWORD src1_sel:BYTE_0
	v_mul_lo_u16_e32 v45, 7, v71
	v_add_u16_sdwa v21, v49, v21 dst_sel:DWORD dst_unused:UNUSED_PAD src0_sel:DWORD src1_sel:BYTE_1
	global_load_dwordx2 v[43:44], v43, s[8:9]
	v_sub_u16_e32 v72, v10, v45
	v_lshrrev_b16_e32 v21, 2, v21
	v_lshlrev_b32_sdwa v45, v23, v72 dst_sel:DWORD dst_unused:UNUSED_PAD src0_sel:DWORD src1_sel:BYTE_0
	global_load_dwordx2 v[45:46], v45, s[8:9]
	v_mul_lo_u16_e32 v49, 7, v21
	v_sub_u16_e32 v73, v8, v49
	v_lshlrev_b32_sdwa v49, v23, v73 dst_sel:DWORD dst_unused:UNUSED_PAD src0_sel:DWORD src1_sel:BYTE_0
	global_load_dwordx2 v[49:50], v49, s[8:9]
	ds_read2_b32 v[51:52], v30 offset0:112 offset1:128
	v_mad_u32_u24 v21, v21, 56, 0
	v_cmp_gt_u32_e64 s[0:1], 14, v0
	v_lshlrev_b64 v[16:17], 3, v[16:17]
	v_lshlrev_b64 v[14:15], 3, v[14:15]
	s_waitcnt vmcnt(6) lgkmcnt(0)
	v_mul_f32_e32 v74, v51, v19
	v_mul_f32_e32 v19, v24, v19
	v_fmac_f32_e32 v74, v24, v18
	v_fma_f32 v51, v51, v18, -v19
	ds_read2_b32 v[18:19], v30 offset0:144 offset1:160
	s_waitcnt vmcnt(5)
	v_mul_f32_e32 v24, v25, v38
	v_mul_f32_e32 v75, v52, v38
	v_fma_f32 v52, v52, v37, -v24
	s_waitcnt vmcnt(4)
	v_mul_f32_e32 v24, v26, v40
	v_fmac_f32_e32 v75, v25, v37
	s_waitcnt lgkmcnt(0)
	v_mul_f32_e32 v37, v18, v40
	v_fma_f32 v18, v18, v39, -v24
	ds_read2_b32 v[24:25], v30 offset0:176 offset1:192
	v_fmac_f32_e32 v37, v26, v39
	s_waitcnt vmcnt(3)
	v_mul_f32_e32 v26, v19, v42
	v_fmac_f32_e32 v26, v27, v41
	v_mul_f32_e32 v27, v27, v42
	v_fma_f32 v19, v19, v41, -v27
	v_sub_f32_e32 v37, v61, v37
	v_sub_f32_e32 v26, v57, v26
	s_waitcnt vmcnt(2) lgkmcnt(0)
	v_mul_f32_e32 v27, v24, v44
	v_fmac_f32_e32 v27, v28, v43
	v_mul_f32_e32 v28, v28, v44
	v_fma_f32 v24, v24, v43, -v28
	s_waitcnt vmcnt(1)
	v_mul_f32_e32 v28, v25, v46
	v_fmac_f32_e32 v28, v29, v45
	v_mul_f32_e32 v29, v29, v46
	v_fma_f32 v39, v25, v45, -v29
	ds_read_b32 v25, v30 offset:832
	ds_read_b32 v40, v33
	ds_read_b32 v41, v34
	ds_read_b32 v42, v35
	ds_read_b32 v43, v36
	ds_read_b32 v44, v32
	ds_read_b32 v45, v31
	ds_read_b32 v29, v3
	s_waitcnt vmcnt(0)
	v_mul_f32_e32 v46, v63, v50
	s_waitcnt lgkmcnt(7)
	v_mul_f32_e32 v38, v25, v50
	v_fma_f32 v46, v25, v49, -v46
	v_mov_b32_e32 v25, 2
	v_fmac_f32_e32 v38, v63, v49
	v_mad_u32_u24 v49, v53, 56, 0
	v_lshlrev_b32_sdwa v50, v25, v54 dst_sel:DWORD dst_unused:UNUSED_PAD src0_sel:DWORD src1_sel:BYTE_0
	v_add3_u32 v49, v49, v50, v9
	v_sub_f32_e32 v50, v56, v74
	v_fma_f32 v53, v56, 2.0, -v50
	s_waitcnt lgkmcnt(0)
	; wave barrier
	s_waitcnt lgkmcnt(0)
	ds_write2_b32 v49, v53, v50 offset1:7
	v_mad_u32_u24 v50, v55, 56, 0
	v_lshlrev_b32_sdwa v53, v25, v64 dst_sel:DWORD dst_unused:UNUSED_PAD src0_sel:DWORD src1_sel:BYTE_0
	v_add3_u32 v50, v50, v53, v9
	v_sub_f32_e32 v53, v62, v75
	v_fma_f32 v54, v62, 2.0, -v53
	ds_write2_b32 v50, v54, v53 offset1:7
	v_mad_u32_u24 v53, v65, 56, 0
	v_lshlrev_b32_sdwa v54, v25, v66 dst_sel:DWORD dst_unused:UNUSED_PAD src0_sel:DWORD src1_sel:BYTE_0
	v_add3_u32 v53, v53, v54, v9
	v_fma_f32 v54, v61, 2.0, -v37
	ds_write2_b32 v53, v54, v37 offset1:7
	v_mad_u32_u24 v37, v67, 56, 0
	v_lshlrev_b32_sdwa v54, v25, v68 dst_sel:DWORD dst_unused:UNUSED_PAD src0_sel:DWORD src1_sel:BYTE_0
	v_add3_u32 v54, v37, v54, v9
	;; [unrolled: 5-line block ×3, first 2 shown]
	v_sub_f32_e32 v26, v58, v27
	v_fma_f32 v27, v58, 2.0, -v26
	ds_write2_b32 v55, v27, v26 offset1:7
	v_mad_u32_u24 v26, v71, 56, 0
	v_lshlrev_b32_sdwa v27, v25, v72 dst_sel:DWORD dst_unused:UNUSED_PAD src0_sel:DWORD src1_sel:BYTE_0
	v_add3_u32 v56, v26, v27, v9
	v_sub_f32_e32 v26, v59, v28
	v_fma_f32 v27, v59, 2.0, -v26
	ds_write2_b32 v56, v27, v26 offset1:7
	v_lshlrev_b32_sdwa v26, v25, v73 dst_sel:DWORD dst_unused:UNUSED_PAD src0_sel:DWORD src1_sel:BYTE_0
	v_add3_u32 v21, v21, v26, v9
	v_sub_f32_e32 v26, v60, v38
	v_sub_f32_e32 v51, v29, v51
	v_fma_f32 v27, v60, 2.0, -v26
	v_fma_f32 v57, v29, 2.0, -v51
	ds_write2_b32 v21, v27, v26 offset1:7
	s_waitcnt lgkmcnt(0)
	; wave barrier
	s_waitcnt lgkmcnt(0)
	ds_read_b32 v58, v3
	ds_read_b32 v59, v33
	;; [unrolled: 1-line block ×7, first 2 shown]
	ds_read_b32 v65, v30 offset:832
	ds_read2_b32 v[26:27], v30 offset0:112 offset1:128
	ds_read2_b32 v[28:29], v30 offset0:144 offset1:160
	;; [unrolled: 1-line block ×3, first 2 shown]
	s_waitcnt lgkmcnt(0)
	; wave barrier
	s_waitcnt lgkmcnt(0)
	ds_write2_b32 v49, v57, v51 offset1:7
	v_sub_f32_e32 v49, v45, v52
	v_sub_f32_e32 v18, v44, v18
	v_fma_f32 v45, v45, 2.0, -v49
	v_fma_f32 v44, v44, 2.0, -v18
	ds_write2_b32 v50, v45, v49 offset1:7
	ds_write2_b32 v53, v44, v18 offset1:7
	v_sub_f32_e32 v18, v40, v19
	v_fma_f32 v19, v40, 2.0, -v18
	ds_write2_b32 v54, v19, v18 offset1:7
	v_sub_f32_e32 v18, v41, v24
	v_fma_f32 v19, v41, 2.0, -v18
	;; [unrolled: 3-line block ×4, first 2 shown]
	v_mov_b32_e32 v51, 1
	ds_write2_b32 v21, v19, v18 offset1:7
	v_lshrrev_b16_sdwa v21, v51, v20 dst_sel:DWORD dst_unused:UNUSED_PAD src0_sel:DWORD src1_sel:BYTE_0
	v_mul_lo_u16_e32 v21, 0x93, v21
	v_lshrrev_b16_e32 v55, 10, v21
	v_mul_lo_u16_e32 v21, 14, v55
	v_add_u32_e32 v18, -14, v0
	v_sub_u16_e32 v56, v20, v21
	v_lshrrev_b16_sdwa v20, v51, v5 dst_sel:DWORD dst_unused:UNUSED_PAD src0_sel:DWORD src1_sel:BYTE_0
	v_cndmask_b32_e64 v18, v18, v0, s[0:1]
	v_mov_b32_e32 v19, 0
	v_mul_lo_u16_e32 v20, 0x93, v20
	v_lshlrev_b64 v[39:40], 3, v[18:19]
	v_lshrrev_b16_e32 v57, 10, v20
	v_mul_lo_u16_e32 v20, 14, v57
	v_mov_b32_e32 v24, s9
	v_add_co_u32_e64 v39, s[0:1], s8, v39
	v_sub_u16_e32 v66, v5, v20
	v_lshrrev_b16_sdwa v20, v51, v12 dst_sel:DWORD dst_unused:UNUSED_PAD src0_sel:DWORD src1_sel:BYTE_0
	v_addc_co_u32_e64 v40, s[0:1], v24, v40, s[0:1]
	v_mul_lo_u16_e32 v20, 0x93, v20
	s_waitcnt lgkmcnt(0)
	; wave barrier
	s_waitcnt lgkmcnt(0)
	v_lshrrev_b16_e32 v67, 10, v20
	global_load_dwordx2 v[20:21], v[39:40], off offset:56
	v_mul_lo_u16_e32 v39, 14, v67
	v_sub_u16_e32 v68, v12, v39
	v_lshlrev_b32_sdwa v39, v23, v66 dst_sel:DWORD dst_unused:UNUSED_PAD src0_sel:DWORD src1_sel:BYTE_0
	v_lshlrev_b32_sdwa v45, v23, v56 dst_sel:DWORD dst_unused:UNUSED_PAD src0_sel:DWORD src1_sel:BYTE_0
	global_load_dwordx2 v[39:40], v39, s[8:9] offset:56
	v_lshlrev_b32_sdwa v46, v23, v68 dst_sel:DWORD dst_unused:UNUSED_PAD src0_sel:DWORD src1_sel:BYTE_0
	global_load_dwordx2 v[41:42], v45, s[8:9] offset:56
	global_load_dwordx2 v[43:44], v46, s[8:9] offset:56
	v_lshrrev_b16_sdwa v45, v51, v13 dst_sel:DWORD dst_unused:UNUSED_PAD src0_sel:DWORD src1_sel:BYTE_0
	v_mul_lo_u16_e32 v45, 0x93, v45
	v_lshrrev_b16_e32 v69, 10, v45
	v_mul_lo_u16_e32 v45, 14, v69
	v_sub_u16_e32 v70, v13, v45
	v_lshrrev_b16_sdwa v45, v51, v10 dst_sel:DWORD dst_unused:UNUSED_PAD src0_sel:DWORD src1_sel:BYTE_0
	v_mul_lo_u16_e32 v45, 0x93, v45
	v_lshrrev_b16_sdwa v51, v51, v8 dst_sel:DWORD dst_unused:UNUSED_PAD src0_sel:DWORD src1_sel:BYTE_0
	v_lshrrev_b16_e32 v71, 10, v45
	v_mul_lo_u16_e32 v51, 0x93, v51
	v_lshlrev_b32_sdwa v45, v23, v70 dst_sel:DWORD dst_unused:UNUSED_PAD src0_sel:DWORD src1_sel:BYTE_0
	v_mul_lo_u16_e32 v49, 14, v71
	v_lshrrev_b16_e32 v73, 10, v51
	global_load_dwordx2 v[45:46], v45, s[8:9] offset:56
	v_sub_u16_e32 v72, v10, v49
	v_mul_lo_u16_e32 v51, 14, v73
	v_lshlrev_b32_sdwa v49, v23, v72 dst_sel:DWORD dst_unused:UNUSED_PAD src0_sel:DWORD src1_sel:BYTE_0
	global_load_dwordx2 v[49:50], v49, s[8:9] offset:56
	v_sub_u16_e32 v74, v8, v51
	v_lshlrev_b32_sdwa v51, v23, v74 dst_sel:DWORD dst_unused:UNUSED_PAD src0_sel:DWORD src1_sel:BYTE_0
	global_load_dwordx2 v[51:52], v51, s[8:9] offset:56
	ds_read2_b32 v[53:54], v30 offset0:112 offset1:128
	v_cmp_lt_u32_e64 s[0:1], 13, v0
	v_lshlrev_b32_e32 v18, 2, v18
	s_waitcnt vmcnt(6) lgkmcnt(0)
	v_mul_f32_e32 v75, v53, v21
	v_mul_f32_e32 v21, v26, v21
	v_fmac_f32_e32 v75, v26, v20
	v_fma_f32 v53, v53, v20, -v21
	ds_read2_b32 v[20:21], v30 offset0:144 offset1:160
	s_waitcnt vmcnt(5)
	v_mul_f32_e32 v76, v54, v40
	v_mul_f32_e32 v26, v27, v40
	v_fmac_f32_e32 v76, v27, v39
	v_fma_f32 v39, v54, v39, -v26
	s_waitcnt vmcnt(4)
	v_mul_f32_e32 v26, v28, v42
	s_waitcnt lgkmcnt(0)
	v_mul_f32_e32 v40, v20, v42
	v_fma_f32 v20, v20, v41, -v26
	ds_read2_b32 v[26:27], v30 offset0:176 offset1:192
	v_fmac_f32_e32 v40, v28, v41
	s_waitcnt vmcnt(3)
	v_mul_f32_e32 v28, v21, v44
	v_fmac_f32_e32 v28, v29, v43
	v_mul_f32_e32 v29, v29, v44
	v_fma_f32 v21, v21, v43, -v29
	s_waitcnt vmcnt(2) lgkmcnt(0)
	v_mul_f32_e32 v29, v26, v46
	v_fmac_f32_e32 v29, v37, v45
	v_mul_f32_e32 v37, v37, v46
	v_fma_f32 v41, v26, v45, -v37
	s_waitcnt vmcnt(1)
	v_mul_f32_e32 v26, v27, v50
	v_mul_f32_e32 v37, v38, v50
	v_fmac_f32_e32 v26, v38, v49
	v_fma_f32 v42, v27, v49, -v37
	ds_read_b32 v27, v30 offset:832
	ds_read_b32 v43, v33
	ds_read_b32 v44, v34
	;; [unrolled: 1-line block ×7, first 2 shown]
	s_waitcnt vmcnt(0) lgkmcnt(7)
	v_mul_f32_e32 v38, v27, v52
	v_mul_f32_e32 v52, v65, v52
	v_fmac_f32_e32 v38, v65, v51
	v_fma_f32 v51, v27, v51, -v52
	v_mov_b32_e32 v27, 0x70
	v_cndmask_b32_e64 v27, 0, v27, s[0:1]
	v_add_u32_e32 v27, 0, v27
	v_add3_u32 v18, v27, v18, v9
	v_sub_f32_e32 v27, v58, v75
	v_fma_f32 v52, v58, 2.0, -v27
	s_movk_i32 s0, 0x70
	s_waitcnt lgkmcnt(0)
	; wave barrier
	s_waitcnt lgkmcnt(0)
	ds_write2_b32 v18, v52, v27 offset1:14
	v_mad_u32_u24 v27, v57, s0, 0
	v_lshlrev_b32_sdwa v52, v25, v66 dst_sel:DWORD dst_unused:UNUSED_PAD src0_sel:DWORD src1_sel:BYTE_0
	v_add3_u32 v52, v27, v52, v9
	v_sub_f32_e32 v27, v64, v76
	v_fma_f32 v54, v64, 2.0, -v27
	ds_write2_b32 v52, v54, v27 offset1:14
	v_mad_u32_u24 v27, v55, s0, 0
	v_lshlrev_b32_sdwa v54, v25, v56 dst_sel:DWORD dst_unused:UNUSED_PAD src0_sel:DWORD src1_sel:BYTE_0
	v_add3_u32 v54, v27, v54, v9
	v_sub_f32_e32 v27, v63, v40
	v_fma_f32 v40, v63, 2.0, -v27
	;; [unrolled: 6-line block ×4, first 2 shown]
	ds_write2_b32 v55, v28, v27 offset1:14
	v_mad_u32_u24 v27, v71, s0, 0
	v_lshlrev_b32_sdwa v28, v25, v72 dst_sel:DWORD dst_unused:UNUSED_PAD src0_sel:DWORD src1_sel:BYTE_0
	v_sub_f32_e32 v26, v61, v26
	v_add3_u32 v56, v27, v28, v9
	v_fma_f32 v27, v61, 2.0, -v26
	ds_write2_b32 v56, v27, v26 offset1:14
	v_mad_u32_u24 v26, v73, s0, 0
	v_lshlrev_b32_sdwa v27, v25, v74 dst_sel:DWORD dst_unused:UNUSED_PAD src0_sel:DWORD src1_sel:BYTE_0
	v_add3_u32 v57, v26, v27, v9
	v_sub_f32_e32 v26, v62, v38
	v_sub_f32_e32 v53, v37, v53
	v_fma_f32 v27, v62, 2.0, -v26
	v_fma_f32 v58, v37, 2.0, -v53
	ds_write2_b32 v57, v27, v26 offset1:14
	s_waitcnt lgkmcnt(0)
	; wave barrier
	s_waitcnt lgkmcnt(0)
	ds_read_b32 v59, v3
	ds_read_b32 v60, v33
	;; [unrolled: 1-line block ×7, first 2 shown]
	ds_read_b32 v66, v30 offset:832
	ds_read2_b32 v[26:27], v30 offset0:112 offset1:128
	ds_read2_b32 v[28:29], v30 offset0:144 offset1:160
	;; [unrolled: 1-line block ×3, first 2 shown]
	s_waitcnt lgkmcnt(0)
	; wave barrier
	s_waitcnt lgkmcnt(0)
	ds_write2_b32 v18, v58, v53 offset1:14
	v_sub_f32_e32 v18, v50, v39
	v_fma_f32 v39, v50, 2.0, -v18
	ds_write2_b32 v52, v39, v18 offset1:14
	v_sub_f32_e32 v18, v49, v20
	v_fma_f32 v20, v49, 2.0, -v18
	;; [unrolled: 3-line block ×6, first 2 shown]
	ds_write2_b32 v57, v20, v18 offset1:14
	v_lshlrev_b64 v[20:21], 3, v[0:1]
	v_lshrrev_b16_sdwa v18, v25, v12 dst_sel:DWORD dst_unused:UNUSED_PAD src0_sel:DWORD src1_sel:BYTE_0
	v_mul_lo_u16_e32 v18, 37, v18
	v_add_co_u32_e64 v20, s[0:1], s8, v20
	v_lshrrev_b16_e32 v57, 8, v18
	v_addc_co_u32_e64 v21, s[0:1], v24, v21, s[0:1]
	v_mul_lo_u16_e32 v18, 28, v57
	v_sub_u16_e32 v58, v12, v18
	v_add_u32_e32 v18, -12, v0
	v_cmp_gt_u32_e64 s[0:1], 28, v5
	v_cndmask_b32_e64 v18, v18, v5, s[0:1]
	v_lshlrev_b64 v[41:42], 3, v[18:19]
	s_waitcnt lgkmcnt(0)
	v_add_co_u32_e64 v41, s[0:1], s8, v41
	v_addc_co_u32_e64 v42, s[0:1], v24, v42, s[0:1]
	; wave barrier
	v_lshlrev_b32_sdwa v51, v23, v58 dst_sel:DWORD dst_unused:UNUSED_PAD src0_sel:DWORD src1_sel:BYTE_0
	global_load_dwordx2 v[39:40], v[20:21], off offset:168
	global_load_dwordx2 v[43:44], v[41:42], off offset:168
	global_load_dwordx2 v[45:46], v51, s[8:9] offset:168
	global_load_dwordx2 v[49:50], v[20:21], off offset:200
	v_lshrrev_b16_sdwa v41, v25, v13 dst_sel:DWORD dst_unused:UNUSED_PAD src0_sel:DWORD src1_sel:BYTE_0
	v_mul_lo_u16_e32 v41, 37, v41
	v_mov_b32_e32 v53, 28
	v_mul_lo_u16_sdwa v41, v41, v53 dst_sel:DWORD dst_unused:UNUSED_PAD src0_sel:BYTE_1 src1_sel:DWORD
	v_sub_u16_e32 v41, v13, v41
	v_and_b32_e32 v67, 0xff, v41
	v_lshrrev_b16_sdwa v41, v25, v10 dst_sel:DWORD dst_unused:UNUSED_PAD src0_sel:DWORD src1_sel:BYTE_0
	v_mul_lo_u16_e32 v41, 37, v41
	v_lshrrev_b16_e32 v68, 8, v41
	v_mul_lo_u16_e32 v51, 28, v68
	v_sub_u16_e32 v69, v10, v51
	v_lshlrev_b32_e32 v41, 3, v67
	v_lshlrev_b32_sdwa v23, v23, v69 dst_sel:DWORD dst_unused:UNUSED_PAD src0_sel:DWORD src1_sel:BYTE_0
	global_load_dwordx2 v[41:42], v41, s[8:9] offset:168
	ds_read2_b32 v[55:56], v30 offset0:112 offset1:128
	global_load_dwordx2 v[51:52], v23, s[8:9] offset:168
	v_lshrrev_b16_sdwa v23, v25, v8 dst_sel:DWORD dst_unused:UNUSED_PAD src0_sel:DWORD src1_sel:BYTE_0
	v_mul_lo_u16_e32 v23, 37, v23
	v_mul_lo_u16_sdwa v23, v23, v53 dst_sel:DWORD dst_unused:UNUSED_PAD src0_sel:BYTE_1 src1_sel:DWORD
	v_sub_u16_e32 v23, v8, v23
	v_and_b32_e32 v23, 0xff, v23
	v_lshlrev_b32_e32 v53, 3, v23
	global_load_dwordx2 v[53:54], v53, s[8:9] offset:168
	v_cmp_lt_u32_e64 s[0:1], 27, v5
	v_lshlrev_b32_e32 v18, 2, v18
	s_waitcnt vmcnt(5) lgkmcnt(0)
	v_mul_f32_e32 v71, v56, v44
	v_mul_f32_e32 v70, v55, v40
	v_fmac_f32_e32 v70, v26, v39
	v_mul_f32_e32 v26, v26, v40
	v_fma_f32 v55, v55, v39, -v26
	ds_read2_b32 v[39:40], v30 offset0:144 offset1:160
	v_mul_f32_e32 v26, v27, v44
	v_fmac_f32_e32 v71, v27, v43
	v_fma_f32 v43, v56, v43, -v26
	s_waitcnt vmcnt(3)
	v_mul_f32_e32 v26, v28, v50
	s_waitcnt lgkmcnt(0)
	v_mul_f32_e32 v44, v39, v50
	v_fma_f32 v39, v39, v49, -v26
	ds_read2_b32 v[26:27], v30 offset0:176 offset1:192
	v_fmac_f32_e32 v44, v28, v49
	v_mul_f32_e32 v28, v40, v46
	v_fmac_f32_e32 v28, v29, v45
	v_mul_f32_e32 v29, v29, v46
	v_fma_f32 v29, v40, v45, -v29
	s_waitcnt vmcnt(2) lgkmcnt(0)
	v_mul_f32_e32 v40, v26, v42
	v_fmac_f32_e32 v40, v37, v41
	v_mul_f32_e32 v37, v37, v42
	v_fma_f32 v41, v26, v41, -v37
	s_waitcnt vmcnt(1)
	v_mul_f32_e32 v26, v27, v52
	v_mul_f32_e32 v37, v38, v52
	v_fmac_f32_e32 v26, v38, v51
	v_fma_f32 v42, v27, v51, -v37
	ds_read_b32 v27, v30 offset:832
	ds_read_b32 v45, v33
	ds_read_b32 v46, v34
	;; [unrolled: 1-line block ×7, first 2 shown]
	s_waitcnt vmcnt(0) lgkmcnt(7)
	v_mul_f32_e32 v38, v27, v54
	v_mul_f32_e32 v54, v66, v54
	v_fmac_f32_e32 v38, v66, v53
	v_fma_f32 v53, v27, v53, -v54
	v_sub_f32_e32 v27, v59, v70
	v_fma_f32 v54, v59, 2.0, -v27
	s_waitcnt lgkmcnt(0)
	; wave barrier
	s_waitcnt lgkmcnt(0)
	ds_write2_b32 v30, v54, v27 offset1:28
	v_mov_b32_e32 v27, 0xe0
	v_cndmask_b32_e64 v5, 0, v27, s[0:1]
	v_add_u32_e32 v5, 0, v5
	v_add3_u32 v5, v5, v18, v9
	v_sub_f32_e32 v18, v65, v71
	v_fma_f32 v27, v65, 2.0, -v18
	ds_write2_b32 v5, v27, v18 offset1:28
	v_sub_f32_e32 v18, v64, v44
	v_fma_f32 v27, v64, 2.0, -v18
	v_add3_u32 v56, 0, v22, v9
	s_movk_i32 s0, 0xe0
	ds_write2_b32 v56, v27, v18 offset0:60 offset1:88
	v_mad_u32_u24 v18, v57, s0, 0
	v_lshlrev_b32_sdwa v22, v25, v58 dst_sel:DWORD dst_unused:UNUSED_PAD src0_sel:DWORD src1_sel:BYTE_0
	v_add3_u32 v18, v18, v22, v9
	v_sub_f32_e32 v22, v60, v28
	v_fma_f32 v27, v60, 2.0, -v22
	ds_write2_b32 v18, v27, v22 offset1:28
	v_sub_f32_e32 v22, v61, v40
	v_fma_f32 v27, v61, 2.0, -v22
	v_lshl_add_u32 v40, v67, 2, v11
	ds_write2_b32 v40, v27, v22 offset0:112 offset1:140
	v_lshlrev_b32_sdwa v22, v25, v69 dst_sel:DWORD dst_unused:UNUSED_PAD src0_sel:DWORD src1_sel:BYTE_0
	v_mad_u32_u24 v25, v68, s0, 0
	v_add3_u32 v22, v25, v22, v9
	v_sub_f32_e32 v25, v62, v26
	v_fma_f32 v26, v62, 2.0, -v25
	v_lshl_add_u32 v11, v23, 2, v11
	v_sub_f32_e32 v23, v63, v38
	ds_write2_b32 v22, v26, v25 offset1:28
	v_fma_f32 v25, v63, 2.0, -v23
	ds_write2_b32 v11, v25, v23 offset0:168 offset1:196
	v_sub_f32_e32 v23, v37, v55
	v_fma_f32 v44, v37, 2.0, -v23
	s_waitcnt lgkmcnt(0)
	; wave barrier
	s_waitcnt lgkmcnt(0)
	ds_read_b32 v55, v3
	ds_read_b32 v57, v33
	;; [unrolled: 1-line block ×7, first 2 shown]
	ds_read_b32 v63, v30 offset:832
	ds_read2_b32 v[25:26], v30 offset0:112 offset1:128
	ds_read2_b32 v[27:28], v30 offset0:144 offset1:160
	;; [unrolled: 1-line block ×3, first 2 shown]
	s_waitcnt lgkmcnt(0)
	; wave barrier
	s_waitcnt lgkmcnt(0)
	ds_write2_b32 v30, v44, v23 offset1:28
	v_sub_f32_e32 v23, v52, v43
	v_fma_f32 v43, v52, 2.0, -v23
	ds_write2_b32 v5, v43, v23 offset1:28
	v_sub_f32_e32 v5, v51, v39
	v_fma_f32 v23, v51, 2.0, -v5
	ds_write2_b32 v56, v23, v5 offset0:60 offset1:88
	v_sub_f32_e32 v5, v45, v29
	v_fma_f32 v23, v45, 2.0, -v5
	ds_write2_b32 v18, v23, v5 offset1:28
	v_sub_f32_e32 v5, v46, v41
	v_fma_f32 v18, v46, 2.0, -v5
	ds_write2_b32 v40, v18, v5 offset0:112 offset1:140
	;; [unrolled: 6-line block ×3, first 2 shown]
	s_waitcnt lgkmcnt(0)
	; wave barrier
	s_waitcnt lgkmcnt(0)
	global_load_dwordx2 v[39:40], v[20:21], off offset:392
	v_add_co_u32_e64 v16, s[0:1], s8, v16
	v_addc_co_u32_e64 v17, s[0:1], v24, v17, s[0:1]
	v_add_co_u32_e64 v22, s[0:1], s8, v14
	v_addc_co_u32_e64 v23, s[0:1], v24, v15, s[0:1]
	global_load_dwordx2 v[43:44], v[22:23], off offset:392
	global_load_dwordx2 v[14:15], v[16:17], off offset:392
	v_add_u32_e32 v5, -8, v0
	v_cmp_gt_u32_e64 s[0:1], 56, v12
	v_cndmask_b32_e64 v18, v5, v12, s[0:1]
	v_lshlrev_b64 v[41:42], 3, v[18:19]
	v_add_co_u32_e64 v41, s[0:1], s8, v41
	v_addc_co_u32_e64 v42, s[0:1], v24, v42, s[0:1]
	global_load_dwordx2 v[45:46], v[41:42], off offset:392
	global_load_dwordx2 v[49:50], v[20:21], off offset:456
	;; [unrolled: 1-line block ×4, first 2 shown]
	ds_read2_b32 v[41:42], v30 offset0:112 offset1:128
	v_cmp_lt_u32_e64 s[0:1], 55, v12
	s_waitcnt vmcnt(6) lgkmcnt(0)
	v_mul_f32_e32 v5, v41, v40
	v_fmac_f32_e32 v5, v25, v39
	v_mul_f32_e32 v11, v25, v40
	ds_read2_b32 v[24:25], v30 offset0:144 offset1:160
	v_sub_f32_e32 v5, v55, v5
	v_fma_f32 v11, v41, v39, -v11
	s_waitcnt vmcnt(4)
	v_mul_f32_e32 v29, v42, v15
	v_mul_f32_e32 v15, v26, v15
	v_fmac_f32_e32 v29, v26, v14
	v_fma_f32 v42, v42, v14, -v15
	s_waitcnt lgkmcnt(0)
	v_mul_f32_e32 v26, v24, v44
	v_mul_f32_e32 v14, v27, v44
	v_fmac_f32_e32 v26, v27, v43
	v_fma_f32 v43, v24, v43, -v14
	ds_read2_b32 v[14:15], v30 offset0:176 offset1:192
	s_waitcnt vmcnt(3)
	v_mul_f32_e32 v27, v28, v46
	v_mul_f32_e32 v24, v25, v46
	v_fma_f32 v44, v25, v45, -v27
	s_waitcnt vmcnt(2)
	v_mul_f32_e32 v27, v37, v50
	v_fmac_f32_e32 v24, v28, v45
	s_waitcnt lgkmcnt(0)
	v_mul_f32_e32 v25, v14, v50
	v_fma_f32 v14, v14, v49, -v27
	s_waitcnt vmcnt(1)
	v_mul_f32_e32 v27, v15, v52
	v_mul_f32_e32 v28, v38, v52
	v_fmac_f32_e32 v25, v37, v49
	v_fmac_f32_e32 v27, v38, v51
	v_fma_f32 v45, v15, v51, -v28
	ds_read_b32 v15, v30 offset:832
	ds_read_b32 v46, v33
	ds_read_b32 v49, v34
	;; [unrolled: 1-line block ×7, first 2 shown]
	s_waitcnt vmcnt(0) lgkmcnt(7)
	v_mul_f32_e32 v37, v15, v54
	v_mul_f32_e32 v38, v63, v54
	v_fmac_f32_e32 v37, v63, v53
	v_fma_f32 v53, v15, v53, -v38
	v_fma_f32 v15, v55, 2.0, -v5
	s_waitcnt lgkmcnt(0)
	; wave barrier
	s_waitcnt lgkmcnt(0)
	ds_write2_b32 v30, v15, v5 offset1:56
	v_sub_f32_e32 v5, v62, v29
	v_fma_f32 v15, v62, 2.0, -v5
	ds_write2_b32 v31, v15, v5 offset1:56
	v_sub_f32_e32 v5, v61, v26
	v_fma_f32 v15, v61, 2.0, -v5
	ds_write2_b32 v32, v15, v5 offset1:56
	v_mov_b32_e32 v5, 0x1c0
	v_cndmask_b32_e64 v5, 0, v5, s[0:1]
	v_add_u32_e32 v5, 0, v5
	v_lshlrev_b32_e32 v15, 2, v18
	v_add3_u32 v9, v5, v15, v9
	v_sub_f32_e32 v5, v57, v24
	v_fma_f32 v15, v57, 2.0, -v5
	ds_write2_b32 v9, v15, v5 offset1:56
	v_sub_f32_e32 v5, v58, v25
	v_sub_f32_e32 v18, v59, v27
	v_fma_f32 v15, v58, 2.0, -v5
	v_fma_f32 v24, v59, 2.0, -v18
	ds_write2_b32 v56, v15, v24 offset0:120 offset1:136
	v_sub_f32_e32 v15, v60, v37
	v_fma_f32 v24, v60, 2.0, -v15
	v_sub_f32_e32 v11, v28, v11
	ds_write2_b32 v56, v24, v5 offset0:152 offset1:176
	v_fma_f32 v54, v28, 2.0, -v11
	ds_write2_b32 v56, v18, v15 offset0:192 offset1:208
	s_waitcnt lgkmcnt(0)
	; wave barrier
	s_waitcnt lgkmcnt(0)
	ds_read_b32 v5, v3
	ds_read_b32 v18, v33
	;; [unrolled: 1-line block ×7, first 2 shown]
	ds_read_b32 v41, v30 offset:832
	ds_read2_b32 v[24:25], v30 offset0:112 offset1:128
	ds_read2_b32 v[26:27], v30 offset0:144 offset1:160
	;; [unrolled: 1-line block ×3, first 2 shown]
	s_waitcnt lgkmcnt(0)
	; wave barrier
	s_waitcnt lgkmcnt(0)
	ds_write2_b32 v30, v54, v11 offset1:56
	v_sub_f32_e32 v11, v64, v42
	v_fma_f32 v42, v64, 2.0, -v11
	ds_write2_b32 v31, v42, v11 offset1:56
	v_sub_f32_e32 v11, v52, v43
	v_fma_f32 v42, v52, 2.0, -v11
	;; [unrolled: 3-line block ×3, first 2 shown]
	ds_write2_b32 v9, v42, v11 offset1:56
	v_sub_f32_e32 v9, v49, v14
	v_sub_f32_e32 v14, v50, v45
	v_fma_f32 v11, v49, 2.0, -v9
	v_fma_f32 v42, v50, 2.0, -v14
	ds_write2_b32 v56, v11, v42 offset0:120 offset1:136
	v_sub_f32_e32 v11, v51, v53
	v_fma_f32 v42, v51, 2.0, -v11
	ds_write2_b32 v56, v42, v9 offset0:152 offset1:176
	ds_write2_b32 v56, v14, v11 offset0:192 offset1:208
	s_waitcnt lgkmcnt(0)
	; wave barrier
	s_waitcnt lgkmcnt(0)
	s_and_saveexec_b64 s[0:1], vcc
	s_cbranch_execz .LBB0_15
; %bb.14:
	v_mov_b32_e32 v9, v19
	v_lshlrev_b64 v[8:9], 3, v[8:9]
	v_mov_b32_e32 v11, v19
	v_mov_b32_e32 v46, s9
	v_add_co_u32_e32 v8, vcc, s8, v8
	v_lshlrev_b64 v[10:11], 3, v[10:11]
	v_addc_co_u32_e32 v9, vcc, v46, v9, vcc
	v_mov_b32_e32 v14, v19
	v_add_co_u32_e32 v10, vcc, s8, v10
	v_lshlrev_b64 v[13:14], 3, v[13:14]
	v_addc_co_u32_e32 v11, vcc, v46, v11, vcc
	v_add_co_u32_e32 v13, vcc, s8, v13
	global_load_dwordx2 v[8:9], v[8:9], off offset:840
	v_addc_co_u32_e32 v14, vcc, v46, v14, vcc
	global_load_dwordx2 v[42:43], v[10:11], off offset:840
	global_load_dwordx2 v[44:45], v[13:14], off offset:840
	v_mov_b32_e32 v13, v19
	v_lshlrev_b64 v[10:11], 3, v[12:13]
	v_mul_lo_u32 v1, s2, v1
	v_add_co_u32_e32 v10, vcc, s8, v10
	v_addc_co_u32_e32 v11, vcc, v46, v11, vcc
	global_load_dwordx2 v[12:13], v[10:11], off offset:840
	global_load_dwordx2 v[49:50], v[22:23], off offset:840
	;; [unrolled: 1-line block ×4, first 2 shown]
	ds_read_b32 v14, v30 offset:832
	ds_read2_b32 v[10:11], v30 offset0:176 offset1:192
	ds_read2_b32 v[16:17], v30 offset0:144 offset1:160
	ds_read_b32 v22, v36
	ds_read_b32 v35, v35
	;; [unrolled: 1-line block ×6, first 2 shown]
	ds_read2_b32 v[19:20], v30 offset0:112 offset1:128
	ds_read_b32 v3, v3
	s_waitcnt vmcnt(6)
	v_mul_f32_e32 v21, v41, v9
	s_waitcnt lgkmcnt(10)
	v_mul_f32_e32 v23, v14, v9
	s_waitcnt vmcnt(5)
	v_mul_f32_e32 v9, v29, v43
	s_waitcnt lgkmcnt(9)
	v_mul_f32_e32 v30, v11, v43
	s_waitcnt vmcnt(4)
	v_mul_f32_e32 v31, v28, v45
	v_mul_f32_e32 v32, v10, v45
	v_fma_f32 v14, v14, v8, -v21
	v_fma_f32 v11, v11, v42, -v9
	s_waitcnt vmcnt(3)
	v_mul_f32_e32 v43, v27, v13
	s_waitcnt lgkmcnt(8)
	v_mul_f32_e32 v45, v17, v13
	s_waitcnt vmcnt(2)
	v_mul_f32_e32 v13, v26, v50
	s_waitcnt vmcnt(1)
	v_mul_f32_e32 v55, v25, v52
	s_waitcnt lgkmcnt(1)
	v_mul_f32_e32 v52, v20, v52
	v_fma_f32 v21, v10, v44, -v31
	v_fmac_f32_e32 v45, v27, v12
	v_fma_f32 v27, v16, v49, -v13
	v_sub_f32_e32 v9, v22, v14
	v_fmac_f32_e32 v52, v25, v51
	s_waitcnt vmcnt(0)
	v_mul_f32_e32 v14, v24, v54
	v_fmac_f32_e32 v32, v28, v44
	v_sub_f32_e32 v11, v35, v11
	v_sub_f32_e32 v13, v34, v21
	;; [unrolled: 1-line block ×3, first 2 shown]
	v_fma_f32 v27, v22, 2.0, -v9
	v_sub_f32_e32 v22, v15, v52
	v_fma_f32 v14, v19, v53, -v14
	v_mul_f32_e32 v50, v16, v50
	v_fmac_f32_e32 v30, v29, v42
	v_fma_f32 v17, v17, v12, -v43
	v_sub_f32_e32 v12, v38, v32
	v_sub_f32_e32 v16, v18, v45
	v_fma_f32 v29, v35, 2.0, -v11
	v_fma_f32 v35, v36, 2.0, -v21
	;; [unrolled: 1-line block ×3, first 2 shown]
	s_waitcnt lgkmcnt(0)
	v_sub_f32_e32 v15, v3, v14
	v_sub_f32_e32 v10, v39, v30
	v_fma_f32 v30, v38, 2.0, -v12
	v_fma_f32 v32, v18, 2.0, -v16
	;; [unrolled: 1-line block ×3, first 2 shown]
	v_mul_f32_e32 v3, v19, v54
	v_mul_lo_u32 v38, s3, v0
	v_mad_u64_u32 v[18:19], s[0:1], s2, v0, 0
	v_fmac_f32_e32 v3, v24, v53
	v_sub_f32_e32 v14, v5, v3
	v_or_b32_e32 v3, 0x70, v0
	v_fma_f32 v28, v39, 2.0, -v10
	v_add3_u32 v19, v19, v1, v38
	v_mad_u64_u32 v[38:39], s[0:1], s2, v3, 0
	v_fmac_f32_e32 v23, v41, v8
	v_fmac_f32_e32 v50, v26, v49
	v_fma_f32 v26, v20, v51, -v55
	v_sub_f32_e32 v8, v40, v23
	v_sub_f32_e32 v23, v46, v26
	v_fma_f32 v26, v40, 2.0, -v8
	v_mov_b32_e32 v1, s13
	v_add_co_u32_e32 v40, vcc, s12, v6
	v_addc_co_u32_e32 v7, vcc, v1, v7, vcc
	v_mov_b32_e32 v1, v39
	v_fma_f32 v24, v5, 2.0, -v14
	v_lshlrev_b64 v[5:6], 3, v[18:19]
	v_mad_u64_u32 v[18:19], s[0:1], s3, v3, v[1:2]
	v_add_co_u32_e32 v5, vcc, v40, v5
	v_mov_b32_e32 v39, v18
	v_mad_u64_u32 v[18:19], s[0:1], s2, v4, 0
	v_addc_co_u32_e32 v6, vcc, v7, v6, vcc
	global_store_dwordx2 v[5:6], v[24:25], off
	v_lshlrev_b64 v[5:6], 3, v[38:39]
	v_or_b32_e32 v38, 0x80, v0
	v_mov_b32_e32 v1, v19
	v_mad_u64_u32 v[24:25], s[0:1], s2, v38, 0
	v_mad_u64_u32 v[3:4], s[0:1], s3, v4, v[1:2]
	v_add_co_u32_e32 v5, vcc, v40, v5
	v_addc_co_u32_e32 v6, vcc, v7, v6, vcc
	v_mov_b32_e32 v1, v25
	global_store_dwordx2 v[5:6], v[14:15], off
	v_mov_b32_e32 v19, v3
	v_mad_u64_u32 v[5:6], s[0:1], s3, v38, v[1:2]
	v_lshlrev_b64 v[3:4], 3, v[18:19]
	v_sub_f32_e32 v20, v37, v50
	v_add_co_u32_e32 v3, vcc, v40, v3
	v_fma_f32 v31, v34, 2.0, -v13
	v_fma_f32 v34, v37, 2.0, -v20
	;; [unrolled: 1-line block ×3, first 2 shown]
	v_addc_co_u32_e32 v4, vcc, v7, v4, vcc
	v_mov_b32_e32 v25, v5
	v_mad_u64_u32 v[5:6], s[0:1], s2, v2, 0
	v_or_b32_e32 v18, 0x90, v0
	global_store_dwordx2 v[3:4], v[36:37], off
	v_lshlrev_b64 v[3:4], 3, v[24:25]
	v_mad_u64_u32 v[14:15], s[0:1], s2, v18, 0
	v_add_co_u32_e32 v3, vcc, v40, v3
	v_addc_co_u32_e32 v4, vcc, v7, v4, vcc
	v_mov_b32_e32 v1, v6
	v_mad_u64_u32 v[1:2], s[0:1], s3, v2, v[1:2]
	global_store_dwordx2 v[3:4], v[22:23], off
	v_mov_b32_e32 v3, v15
	v_mad_u64_u32 v[3:4], s[0:1], s3, v18, v[3:4]
	v_mov_b32_e32 v6, v1
	v_lshlrev_b64 v[1:2], 3, v[5:6]
	v_mov_b32_e32 v15, v3
	v_mad_u64_u32 v[3:4], s[0:1], s2, v48, 0
	v_add_co_u32_e32 v1, vcc, v40, v1
	v_addc_co_u32_e32 v2, vcc, v7, v2, vcc
	global_store_dwordx2 v[1:2], v[34:35], off
	v_lshlrev_b64 v[1:2], 3, v[14:15]
	v_mad_u64_u32 v[4:5], s[0:1], s3, v48, v[4:5]
	v_or_b32_e32 v14, 0xa0, v0
	v_mad_u64_u32 v[5:6], s[0:1], s2, v14, 0
	v_add_co_u32_e32 v1, vcc, v40, v1
	v_addc_co_u32_e32 v2, vcc, v7, v2, vcc
	global_store_dwordx2 v[1:2], v[20:21], off
	v_lshlrev_b64 v[1:2], 3, v[3:4]
	v_mov_b32_e32 v3, v6
	v_mad_u64_u32 v[3:4], s[0:1], s3, v14, v[3:4]
	v_sub_f32_e32 v17, v33, v17
	v_add_co_u32_e32 v1, vcc, v40, v1
	v_mov_b32_e32 v6, v3
	v_mad_u64_u32 v[3:4], s[0:1], s2, v47, 0
	v_fma_f32 v33, v33, 2.0, -v17
	v_addc_co_u32_e32 v2, vcc, v7, v2, vcc
	global_store_dwordx2 v[1:2], v[32:33], off
	v_lshlrev_b64 v[1:2], 3, v[5:6]
	v_mad_u64_u32 v[4:5], s[0:1], s3, v47, v[4:5]
	v_or_b32_e32 v14, 0xb0, v0
	v_mad_u64_u32 v[5:6], s[0:1], s2, v14, 0
	v_add_co_u32_e32 v1, vcc, v40, v1
	v_addc_co_u32_e32 v2, vcc, v7, v2, vcc
	global_store_dwordx2 v[1:2], v[16:17], off
	v_lshlrev_b64 v[1:2], 3, v[3:4]
	v_mov_b32_e32 v3, v6
	v_mad_u64_u32 v[3:4], s[0:1], s3, v14, v[3:4]
	v_add_co_u32_e32 v1, vcc, v40, v1
	v_addc_co_u32_e32 v2, vcc, v7, v2, vcc
	v_mov_b32_e32 v6, v3
	global_store_dwordx2 v[1:2], v[30:31], off
	v_lshlrev_b64 v[1:2], 3, v[5:6]
	v_or_b32_e32 v5, 0x50, v0
	v_mad_u64_u32 v[3:4], s[0:1], s2, v5, 0
	v_or_b32_e32 v14, 0xc0, v0
	v_add_co_u32_e32 v1, vcc, v40, v1
	v_mad_u64_u32 v[4:5], s[0:1], s3, v5, v[4:5]
	v_mad_u64_u32 v[5:6], s[0:1], s2, v14, 0
	v_addc_co_u32_e32 v2, vcc, v7, v2, vcc
	global_store_dwordx2 v[1:2], v[12:13], off
	v_lshlrev_b64 v[1:2], 3, v[3:4]
	v_mov_b32_e32 v3, v6
	v_mad_u64_u32 v[3:4], s[0:1], s3, v14, v[3:4]
	v_add_co_u32_e32 v1, vcc, v40, v1
	v_addc_co_u32_e32 v2, vcc, v7, v2, vcc
	v_mov_b32_e32 v6, v3
	global_store_dwordx2 v[1:2], v[28:29], off
	v_lshlrev_b64 v[1:2], 3, v[5:6]
	v_or_b32_e32 v5, 0x60, v0
	v_mad_u64_u32 v[3:4], s[0:1], s2, v5, 0
	v_or_b32_e32 v12, 0xd0, v0
	v_add_co_u32_e32 v1, vcc, v40, v1
	v_mad_u64_u32 v[4:5], s[0:1], s3, v5, v[4:5]
	v_mad_u64_u32 v[5:6], s[0:1], s2, v12, 0
	v_addc_co_u32_e32 v2, vcc, v7, v2, vcc
	global_store_dwordx2 v[1:2], v[10:11], off
	v_mov_b32_e32 v2, v6
	v_lshlrev_b64 v[0:1], 3, v[3:4]
	v_mad_u64_u32 v[2:3], s[0:1], s3, v12, v[2:3]
	v_add_co_u32_e32 v0, vcc, v40, v0
	v_addc_co_u32_e32 v1, vcc, v7, v1, vcc
	v_mov_b32_e32 v6, v2
	global_store_dwordx2 v[0:1], v[26:27], off
	v_lshlrev_b64 v[0:1], 3, v[5:6]
	v_add_co_u32_e32 v0, vcc, v40, v0
	v_addc_co_u32_e32 v1, vcc, v7, v1, vcc
	global_store_dwordx2 v[0:1], v[8:9], off
.LBB0_15:
	s_endpgm
	.section	.rodata,"a",@progbits
	.p2align	6, 0x0
	.amdhsa_kernel fft_rtc_back_len224_factors_7_2_2_2_2_2_wgs_64_tpt_16_halfLds_sp_ip_CI_sbrr_dirReg
		.amdhsa_group_segment_fixed_size 0
		.amdhsa_private_segment_fixed_size 0
		.amdhsa_kernarg_size 88
		.amdhsa_user_sgpr_count 6
		.amdhsa_user_sgpr_private_segment_buffer 1
		.amdhsa_user_sgpr_dispatch_ptr 0
		.amdhsa_user_sgpr_queue_ptr 0
		.amdhsa_user_sgpr_kernarg_segment_ptr 1
		.amdhsa_user_sgpr_dispatch_id 0
		.amdhsa_user_sgpr_flat_scratch_init 0
		.amdhsa_user_sgpr_private_segment_size 0
		.amdhsa_uses_dynamic_stack 0
		.amdhsa_system_sgpr_private_segment_wavefront_offset 0
		.amdhsa_system_sgpr_workgroup_id_x 1
		.amdhsa_system_sgpr_workgroup_id_y 0
		.amdhsa_system_sgpr_workgroup_id_z 0
		.amdhsa_system_sgpr_workgroup_info 0
		.amdhsa_system_vgpr_workitem_id 0
		.amdhsa_next_free_vgpr 77
		.amdhsa_next_free_sgpr 24
		.amdhsa_reserve_vcc 1
		.amdhsa_reserve_flat_scratch 0
		.amdhsa_float_round_mode_32 0
		.amdhsa_float_round_mode_16_64 0
		.amdhsa_float_denorm_mode_32 3
		.amdhsa_float_denorm_mode_16_64 3
		.amdhsa_dx10_clamp 1
		.amdhsa_ieee_mode 1
		.amdhsa_fp16_overflow 0
		.amdhsa_exception_fp_ieee_invalid_op 0
		.amdhsa_exception_fp_denorm_src 0
		.amdhsa_exception_fp_ieee_div_zero 0
		.amdhsa_exception_fp_ieee_overflow 0
		.amdhsa_exception_fp_ieee_underflow 0
		.amdhsa_exception_fp_ieee_inexact 0
		.amdhsa_exception_int_div_zero 0
	.end_amdhsa_kernel
	.text
.Lfunc_end0:
	.size	fft_rtc_back_len224_factors_7_2_2_2_2_2_wgs_64_tpt_16_halfLds_sp_ip_CI_sbrr_dirReg, .Lfunc_end0-fft_rtc_back_len224_factors_7_2_2_2_2_2_wgs_64_tpt_16_halfLds_sp_ip_CI_sbrr_dirReg
                                        ; -- End function
	.section	.AMDGPU.csdata,"",@progbits
; Kernel info:
; codeLenInByte = 9064
; NumSgprs: 28
; NumVgprs: 77
; ScratchSize: 0
; MemoryBound: 0
; FloatMode: 240
; IeeeMode: 1
; LDSByteSize: 0 bytes/workgroup (compile time only)
; SGPRBlocks: 3
; VGPRBlocks: 19
; NumSGPRsForWavesPerEU: 28
; NumVGPRsForWavesPerEU: 77
; Occupancy: 3
; WaveLimiterHint : 1
; COMPUTE_PGM_RSRC2:SCRATCH_EN: 0
; COMPUTE_PGM_RSRC2:USER_SGPR: 6
; COMPUTE_PGM_RSRC2:TRAP_HANDLER: 0
; COMPUTE_PGM_RSRC2:TGID_X_EN: 1
; COMPUTE_PGM_RSRC2:TGID_Y_EN: 0
; COMPUTE_PGM_RSRC2:TGID_Z_EN: 0
; COMPUTE_PGM_RSRC2:TIDIG_COMP_CNT: 0
	.type	__hip_cuid_e4ac8e0a17186739,@object ; @__hip_cuid_e4ac8e0a17186739
	.section	.bss,"aw",@nobits
	.globl	__hip_cuid_e4ac8e0a17186739
__hip_cuid_e4ac8e0a17186739:
	.byte	0                               ; 0x0
	.size	__hip_cuid_e4ac8e0a17186739, 1

	.ident	"AMD clang version 19.0.0git (https://github.com/RadeonOpenCompute/llvm-project roc-6.4.0 25133 c7fe45cf4b819c5991fe208aaa96edf142730f1d)"
	.section	".note.GNU-stack","",@progbits
	.addrsig
	.addrsig_sym __hip_cuid_e4ac8e0a17186739
	.amdgpu_metadata
---
amdhsa.kernels:
  - .args:
      - .actual_access:  read_only
        .address_space:  global
        .offset:         0
        .size:           8
        .value_kind:     global_buffer
      - .offset:         8
        .size:           8
        .value_kind:     by_value
      - .actual_access:  read_only
        .address_space:  global
        .offset:         16
        .size:           8
        .value_kind:     global_buffer
      - .actual_access:  read_only
        .address_space:  global
        .offset:         24
        .size:           8
        .value_kind:     global_buffer
      - .offset:         32
        .size:           8
        .value_kind:     by_value
      - .actual_access:  read_only
        .address_space:  global
        .offset:         40
        .size:           8
        .value_kind:     global_buffer
      - .actual_access:  read_only
        .address_space:  global
        .offset:         48
        .size:           8
        .value_kind:     global_buffer
      - .offset:         56
        .size:           4
        .value_kind:     by_value
      - .actual_access:  read_only
        .address_space:  global
        .offset:         64
        .size:           8
        .value_kind:     global_buffer
      - .actual_access:  read_only
        .address_space:  global
        .offset:         72
        .size:           8
        .value_kind:     global_buffer
      - .address_space:  global
        .offset:         80
        .size:           8
        .value_kind:     global_buffer
    .group_segment_fixed_size: 0
    .kernarg_segment_align: 8
    .kernarg_segment_size: 88
    .language:       OpenCL C
    .language_version:
      - 2
      - 0
    .max_flat_workgroup_size: 64
    .name:           fft_rtc_back_len224_factors_7_2_2_2_2_2_wgs_64_tpt_16_halfLds_sp_ip_CI_sbrr_dirReg
    .private_segment_fixed_size: 0
    .sgpr_count:     28
    .sgpr_spill_count: 0
    .symbol:         fft_rtc_back_len224_factors_7_2_2_2_2_2_wgs_64_tpt_16_halfLds_sp_ip_CI_sbrr_dirReg.kd
    .uniform_work_group_size: 1
    .uses_dynamic_stack: false
    .vgpr_count:     77
    .vgpr_spill_count: 0
    .wavefront_size: 64
amdhsa.target:   amdgcn-amd-amdhsa--gfx906
amdhsa.version:
  - 1
  - 2
...

	.end_amdgpu_metadata
